;; amdgpu-corpus repo=ROCm/rocFFT kind=compiled arch=gfx950 opt=O3
	.text
	.amdgcn_target "amdgcn-amd-amdhsa--gfx950"
	.amdhsa_code_object_version 6
	.protected	fft_rtc_back_len660_factors_11_6_10_wgs_110_tpt_110_halfLds_dp_ip_CI_unitstride_sbrr_dirReg ; -- Begin function fft_rtc_back_len660_factors_11_6_10_wgs_110_tpt_110_halfLds_dp_ip_CI_unitstride_sbrr_dirReg
	.globl	fft_rtc_back_len660_factors_11_6_10_wgs_110_tpt_110_halfLds_dp_ip_CI_unitstride_sbrr_dirReg
	.p2align	8
	.type	fft_rtc_back_len660_factors_11_6_10_wgs_110_tpt_110_halfLds_dp_ip_CI_unitstride_sbrr_dirReg,@function
fft_rtc_back_len660_factors_11_6_10_wgs_110_tpt_110_halfLds_dp_ip_CI_unitstride_sbrr_dirReg: ; @fft_rtc_back_len660_factors_11_6_10_wgs_110_tpt_110_halfLds_dp_ip_CI_unitstride_sbrr_dirReg
; %bb.0:
	s_load_dwordx2 s[8:9], s[0:1], 0x50
	s_load_dwordx4 s[4:7], s[0:1], 0x0
	s_load_dwordx2 s[10:11], s[0:1], 0x18
	v_mul_u32_u24_e32 v1, 0x254, v0
	v_add_u32_sdwa v6, s2, v1 dst_sel:DWORD dst_unused:UNUSED_PAD src0_sel:DWORD src1_sel:WORD_1
	v_mov_b32_e32 v4, 0
	s_waitcnt lgkmcnt(0)
	v_cmp_lt_u64_e64 s[2:3], s[6:7], 2
	v_mov_b32_e32 v7, v4
	s_and_b64 vcc, exec, s[2:3]
	v_mov_b64_e32 v[2:3], 0
	s_cbranch_vccnz .LBB0_8
; %bb.1:
	s_load_dwordx2 s[2:3], s[0:1], 0x10
	s_add_u32 s12, s10, 8
	s_addc_u32 s13, s11, 0
	s_mov_b64 s[14:15], 1
	v_mov_b64_e32 v[2:3], 0
	s_waitcnt lgkmcnt(0)
	s_add_u32 s16, s2, 8
	s_addc_u32 s17, s3, 0
.LBB0_2:                                ; =>This Inner Loop Header: Depth=1
	s_load_dwordx2 s[18:19], s[16:17], 0x0
                                        ; implicit-def: $vgpr8_vgpr9
	s_waitcnt lgkmcnt(0)
	v_or_b32_e32 v5, s19, v7
	v_cmp_ne_u64_e32 vcc, 0, v[4:5]
	s_and_saveexec_b64 s[2:3], vcc
	s_xor_b64 s[20:21], exec, s[2:3]
	s_cbranch_execz .LBB0_4
; %bb.3:                                ;   in Loop: Header=BB0_2 Depth=1
	v_cvt_f32_u32_e32 v1, s18
	v_cvt_f32_u32_e32 v5, s19
	s_sub_u32 s2, 0, s18
	s_subb_u32 s3, 0, s19
	v_fmac_f32_e32 v1, 0x4f800000, v5
	v_rcp_f32_e32 v1, v1
	s_nop 0
	v_mul_f32_e32 v1, 0x5f7ffffc, v1
	v_mul_f32_e32 v5, 0x2f800000, v1
	v_trunc_f32_e32 v5, v5
	v_fmac_f32_e32 v1, 0xcf800000, v5
	v_cvt_u32_f32_e32 v5, v5
	v_cvt_u32_f32_e32 v1, v1
	v_mul_lo_u32 v8, s2, v5
	v_mul_hi_u32 v10, s2, v1
	v_mul_lo_u32 v9, s3, v1
	v_add_u32_e32 v10, v10, v8
	v_mul_lo_u32 v12, s2, v1
	v_add_u32_e32 v13, v10, v9
	v_mul_hi_u32 v8, v1, v12
	v_mul_hi_u32 v11, v1, v13
	v_mul_lo_u32 v10, v1, v13
	v_mov_b32_e32 v9, v4
	v_lshl_add_u64 v[8:9], v[8:9], 0, v[10:11]
	v_mul_hi_u32 v11, v5, v12
	v_mul_lo_u32 v12, v5, v12
	v_add_co_u32_e32 v8, vcc, v8, v12
	v_mul_hi_u32 v10, v5, v13
	s_nop 0
	v_addc_co_u32_e32 v8, vcc, v9, v11, vcc
	v_mov_b32_e32 v9, v4
	s_nop 0
	v_addc_co_u32_e32 v11, vcc, 0, v10, vcc
	v_mul_lo_u32 v10, v5, v13
	v_lshl_add_u64 v[8:9], v[8:9], 0, v[10:11]
	v_add_co_u32_e32 v1, vcc, v1, v8
	v_mul_lo_u32 v10, s2, v1
	s_nop 0
	v_addc_co_u32_e32 v5, vcc, v5, v9, vcc
	v_mul_lo_u32 v8, s2, v5
	v_mul_hi_u32 v9, s2, v1
	v_add_u32_e32 v8, v9, v8
	v_mul_lo_u32 v9, s3, v1
	v_add_u32_e32 v12, v8, v9
	v_mul_hi_u32 v14, v5, v10
	v_mul_lo_u32 v15, v5, v10
	v_mul_hi_u32 v9, v1, v12
	v_mul_lo_u32 v8, v1, v12
	v_mul_hi_u32 v10, v1, v10
	v_mov_b32_e32 v11, v4
	v_lshl_add_u64 v[8:9], v[10:11], 0, v[8:9]
	v_add_co_u32_e32 v8, vcc, v8, v15
	v_mul_hi_u32 v13, v5, v12
	s_nop 0
	v_addc_co_u32_e32 v8, vcc, v9, v14, vcc
	v_mul_lo_u32 v10, v5, v12
	s_nop 0
	v_addc_co_u32_e32 v11, vcc, 0, v13, vcc
	v_mov_b32_e32 v9, v4
	v_lshl_add_u64 v[8:9], v[8:9], 0, v[10:11]
	v_add_co_u32_e32 v1, vcc, v1, v8
	v_mul_hi_u32 v10, v6, v1
	s_nop 0
	v_addc_co_u32_e32 v5, vcc, v5, v9, vcc
	v_mad_u64_u32 v[8:9], s[2:3], v6, v5, 0
	v_mov_b32_e32 v11, v4
	v_lshl_add_u64 v[8:9], v[10:11], 0, v[8:9]
	v_mad_u64_u32 v[12:13], s[2:3], v7, v1, 0
	v_add_co_u32_e32 v1, vcc, v8, v12
	v_mad_u64_u32 v[10:11], s[2:3], v7, v5, 0
	s_nop 0
	v_addc_co_u32_e32 v8, vcc, v9, v13, vcc
	v_mov_b32_e32 v9, v4
	s_nop 0
	v_addc_co_u32_e32 v11, vcc, 0, v11, vcc
	v_lshl_add_u64 v[8:9], v[8:9], 0, v[10:11]
	v_mul_lo_u32 v1, s19, v8
	v_mul_lo_u32 v5, s18, v9
	v_mad_u64_u32 v[10:11], s[2:3], s18, v8, 0
	v_add3_u32 v1, v11, v5, v1
	v_sub_u32_e32 v5, v7, v1
	v_mov_b32_e32 v11, s19
	v_sub_co_u32_e32 v14, vcc, v6, v10
	v_lshl_add_u64 v[12:13], v[8:9], 0, 1
	s_nop 0
	v_subb_co_u32_e64 v5, s[2:3], v5, v11, vcc
	v_subrev_co_u32_e64 v10, s[2:3], s18, v14
	v_subb_co_u32_e32 v1, vcc, v7, v1, vcc
	s_nop 0
	v_subbrev_co_u32_e64 v5, s[2:3], 0, v5, s[2:3]
	v_cmp_le_u32_e64 s[2:3], s19, v5
	v_cmp_le_u32_e32 vcc, s19, v1
	s_nop 0
	v_cndmask_b32_e64 v11, 0, -1, s[2:3]
	v_cmp_le_u32_e64 s[2:3], s18, v10
	s_nop 1
	v_cndmask_b32_e64 v10, 0, -1, s[2:3]
	v_cmp_eq_u32_e64 s[2:3], s19, v5
	s_nop 1
	v_cndmask_b32_e64 v5, v11, v10, s[2:3]
	v_lshl_add_u64 v[10:11], v[8:9], 0, 2
	v_cmp_ne_u32_e64 s[2:3], 0, v5
	s_nop 1
	v_cndmask_b32_e64 v5, v13, v11, s[2:3]
	v_cndmask_b32_e64 v11, 0, -1, vcc
	v_cmp_le_u32_e32 vcc, s18, v14
	s_nop 1
	v_cndmask_b32_e64 v13, 0, -1, vcc
	v_cmp_eq_u32_e32 vcc, s19, v1
	s_nop 1
	v_cndmask_b32_e32 v1, v11, v13, vcc
	v_cmp_ne_u32_e32 vcc, 0, v1
	v_cndmask_b32_e64 v1, v12, v10, s[2:3]
	s_nop 0
	v_cndmask_b32_e32 v9, v9, v5, vcc
	v_cndmask_b32_e32 v8, v8, v1, vcc
.LBB0_4:                                ;   in Loop: Header=BB0_2 Depth=1
	s_andn2_saveexec_b64 s[2:3], s[20:21]
	s_cbranch_execz .LBB0_6
; %bb.5:                                ;   in Loop: Header=BB0_2 Depth=1
	v_cvt_f32_u32_e32 v1, s18
	s_sub_i32 s20, 0, s18
	v_rcp_iflag_f32_e32 v1, v1
	s_nop 0
	v_mul_f32_e32 v1, 0x4f7ffffe, v1
	v_cvt_u32_f32_e32 v1, v1
	v_mul_lo_u32 v5, s20, v1
	v_mul_hi_u32 v5, v1, v5
	v_add_u32_e32 v1, v1, v5
	v_mul_hi_u32 v1, v6, v1
	v_mul_lo_u32 v5, v1, s18
	v_sub_u32_e32 v5, v6, v5
	v_add_u32_e32 v8, 1, v1
	v_subrev_u32_e32 v9, s18, v5
	v_cmp_le_u32_e32 vcc, s18, v5
	s_nop 1
	v_cndmask_b32_e32 v5, v5, v9, vcc
	v_cndmask_b32_e32 v1, v1, v8, vcc
	v_add_u32_e32 v8, 1, v1
	v_cmp_le_u32_e32 vcc, s18, v5
	v_mov_b32_e32 v9, v4
	s_nop 0
	v_cndmask_b32_e32 v8, v1, v8, vcc
.LBB0_6:                                ;   in Loop: Header=BB0_2 Depth=1
	s_or_b64 exec, exec, s[2:3]
	v_mad_u64_u32 v[10:11], s[2:3], v8, s18, 0
	s_load_dwordx2 s[2:3], s[12:13], 0x0
	v_mul_lo_u32 v1, v9, s18
	v_mul_lo_u32 v5, v8, s19
	v_add3_u32 v1, v11, v5, v1
	v_sub_co_u32_e32 v5, vcc, v6, v10
	s_add_u32 s14, s14, 1
	s_nop 0
	v_subb_co_u32_e32 v1, vcc, v7, v1, vcc
	s_addc_u32 s15, s15, 0
	s_waitcnt lgkmcnt(0)
	v_mul_lo_u32 v1, s2, v1
	v_mul_lo_u32 v6, s3, v5
	v_mad_u64_u32 v[2:3], s[2:3], s2, v5, v[2:3]
	s_add_u32 s12, s12, 8
	v_add3_u32 v3, v6, v3, v1
	s_addc_u32 s13, s13, 0
	v_mov_b64_e32 v[6:7], s[6:7]
	s_add_u32 s16, s16, 8
	v_cmp_ge_u64_e32 vcc, s[14:15], v[6:7]
	s_addc_u32 s17, s17, 0
	s_cbranch_vccnz .LBB0_9
; %bb.7:                                ;   in Loop: Header=BB0_2 Depth=1
	v_mov_b64_e32 v[6:7], v[8:9]
	s_branch .LBB0_2
.LBB0_8:
	v_mov_b64_e32 v[8:9], v[6:7]
.LBB0_9:
	s_lshl_b64 s[2:3], s[6:7], 3
	s_add_u32 s2, s10, s2
	s_addc_u32 s3, s11, s3
	s_load_dwordx2 s[6:7], s[2:3], 0x0
	s_load_dwordx2 s[10:11], s[0:1], 0x20
                                        ; implicit-def: $vgpr56_vgpr57
                                        ; implicit-def: $vgpr48_vgpr49
                                        ; implicit-def: $vgpr52_vgpr53
                                        ; implicit-def: $vgpr44_vgpr45
                                        ; implicit-def: $vgpr40_vgpr41
                                        ; implicit-def: $vgpr32_vgpr33
                                        ; implicit-def: $vgpr36_vgpr37
                                        ; implicit-def: $vgpr28_vgpr29
                                        ; implicit-def: $vgpr24_vgpr25
                                        ; implicit-def: $vgpr20_vgpr21
                                        ; implicit-def: $vgpr16_vgpr17
	s_waitcnt lgkmcnt(0)
	v_mad_u64_u32 v[2:3], s[0:1], s6, v8, v[2:3]
	v_mul_lo_u32 v1, s6, v9
	v_mul_lo_u32 v4, s7, v8
	s_mov_b32 s0, 0x253c826
	v_add3_u32 v3, v4, v3, v1
	v_mul_hi_u32 v1, v0, s0
	v_mul_u32_u24_e32 v1, 0x6e, v1
	v_sub_u32_e32 v70, v0, v1
	v_cmp_gt_u64_e32 vcc, s[10:11], v[8:9]
	v_cmp_gt_u32_e64 s[0:1], 60, v70
	s_and_b64 s[2:3], vcc, s[0:1]
	v_lshl_add_u64 v[72:73], v[2:3], 4, s[8:9]
	s_and_saveexec_b64 s[6:7], s[2:3]
	s_cbranch_execz .LBB0_11
; %bb.10:
	v_mov_b32_e32 v71, 0
	v_lshl_add_u64 v[0:1], v[70:71], 4, v[72:73]
	s_movk_i32 s2, 0x1000
	v_add_co_u32_e64 v2, s[2:3], s2, v0
	global_load_dwordx4 v[14:17], v[0:1], off
	global_load_dwordx4 v[18:21], v[0:1], off offset:960
	global_load_dwordx4 v[22:25], v[0:1], off offset:1920
	;; [unrolled: 1-line block ×3, first 2 shown]
	v_addc_co_u32_e64 v3, s[2:3], 0, v1, s[2:3]
	s_movk_i32 s2, 0x2000
	global_load_dwordx4 v[34:37], v[0:1], off offset:3840
	global_load_dwordx4 v[30:33], v[2:3], off offset:704
	;; [unrolled: 1-line block ×4, first 2 shown]
	v_add_co_u32_e64 v0, s[2:3], s2, v0
	s_nop 1
	v_addc_co_u32_e64 v1, s[2:3], 0, v1, s[2:3]
	global_load_dwordx4 v[50:53], v[2:3], off offset:3584
	global_load_dwordx4 v[46:49], v[0:1], off offset:448
	;; [unrolled: 1-line block ×3, first 2 shown]
.LBB0_11:
	s_or_b64 exec, exec, s[6:7]
	s_mov_b32 s18, 0x8eee2c13
	s_waitcnt vmcnt(0)
	v_add_f64 v[8:9], v[20:21], -v[56:57]
	s_mov_b32 s6, 0xd9c712b6
	s_mov_b32 s19, 0xbfed1bb4
	;; [unrolled: 1-line block ×3, first 2 shown]
	v_add_f64 v[10:11], v[54:55], v[18:19]
	s_mov_b32 s7, 0x3fda9628
	v_mul_f64 v[12:13], v[8:9], s[18:19]
	s_mov_b32 s12, 0x43842ef
	s_mov_b32 s8, 0x7f775887
	;; [unrolled: 1-line block ×3, first 2 shown]
	v_add_f64 v[58:59], v[24:25], -v[48:49]
	v_fma_f64 v[0:1], v[10:11], s[6:7], -v[12:13]
	s_mov_b32 s2, 0x640f44db
	s_mov_b32 s13, 0xbfefac9e
	;; [unrolled: 1-line block ×3, first 2 shown]
	v_add_f64 v[60:61], v[46:47], v[22:23]
	v_mul_f64 v[62:63], v[58:59], s[14:15]
	s_mov_b32 s20, 0xfd768dbf
	v_add_f64 v[0:1], v[14:15], v[0:1]
	s_mov_b32 s3, 0xbfc2375f
	v_fma_f64 v[2:3], v[60:61], s[8:9], -v[62:63]
	v_mul_f64 v[66:67], v[8:9], s[12:13]
	s_mov_b32 s10, 0x9bcd5057
	s_mov_b32 s21, 0xbfd207e7
	s_mov_b32 s25, 0x3fd207e7
	s_mov_b32 s24, s20
	v_add_f64 v[0:1], v[2:3], v[0:1]
	v_fma_f64 v[2:3], v[10:11], s[2:3], -v[66:67]
	s_mov_b32 s11, 0xbfeeb42a
	v_mul_f64 v[74:75], v[58:59], s[24:25]
	v_add_f64 v[64:65], v[28:29], -v[52:53]
	v_add_f64 v[2:3], v[14:15], v[2:3]
	v_fma_f64 v[4:5], v[60:61], s[10:11], -v[74:75]
	v_add_f64 v[68:69], v[50:51], v[26:27]
	v_mul_f64 v[78:79], v[64:65], s[24:25]
	s_mov_b32 s23, 0x3fed1bb4
	s_mov_b32 s22, s18
	v_add_f64 v[2:3], v[4:5], v[2:3]
	v_fma_f64 v[4:5], v[68:69], s[10:11], -v[78:79]
	v_mul_f64 v[84:85], v[64:65], s[22:23]
	s_mov_b32 s27, 0x3fefac9e
	s_mov_b32 s26, s12
	v_add_f64 v[76:77], v[36:37], -v[44:45]
	s_mov_b32 s28, 0xf8bb580b
	v_add_f64 v[0:1], v[4:5], v[0:1]
	v_fma_f64 v[4:5], v[68:69], s[6:7], -v[84:85]
	v_add_f64 v[80:81], v[42:43], v[34:35]
	v_mul_f64 v[86:87], v[76:77], s[26:27]
	s_mov_b32 s16, 0x8764f0ba
	s_mov_b32 s29, 0x3fe14ced
	;; [unrolled: 1-line block ×4, first 2 shown]
	v_add_f64 v[2:3], v[4:5], v[2:3]
	v_fma_f64 v[4:5], v[80:81], s[2:3], -v[86:87]
	s_mov_b32 s17, 0x3feaeb8c
	v_mul_f64 v[90:91], v[76:77], s[30:31]
	v_add_f64 v[82:83], v[32:33], -v[40:41]
	v_add_f64 v[0:1], v[4:5], v[0:1]
	v_fma_f64 v[4:5], v[80:81], s[16:17], -v[90:91]
	v_add_f64 v[88:89], v[38:39], v[30:31]
	v_mul_f64 v[92:93], v[82:83], s[28:29]
	v_add_f64 v[4:5], v[4:5], v[2:3]
	v_fma_f64 v[2:3], v[88:89], s[16:17], -v[92:93]
	v_mul_f64 v[94:95], v[82:83], s[14:15]
	v_add_f64 v[2:3], v[2:3], v[0:1]
	v_fma_f64 v[0:1], v[88:89], s[8:9], -v[94:95]
	;; [unrolled: 3-line block ×6, first 2 shown]
	v_add_f64 v[6:7], v[100:101], v[6:7]
	v_mul_f64 v[100:101], v[64:65], s[30:31]
	v_fma_f64 v[102:103], v[68:69], s[16:17], -v[100:101]
	v_mul_f64 v[110:111], v[64:65], s[14:15]
	v_add_f64 v[4:5], v[102:103], v[4:5]
	v_fma_f64 v[102:103], v[68:69], s[8:9], -v[110:111]
	v_add_f64 v[6:7], v[102:103], v[6:7]
	v_mul_f64 v[102:103], v[76:77], s[20:21]
	v_fma_f64 v[108:109], v[80:81], s[10:11], -v[102:103]
	v_mul_f64 v[112:113], v[76:77], s[22:23]
	v_add_f64 v[4:5], v[108:109], v[4:5]
	v_fma_f64 v[108:109], v[80:81], s[6:7], -v[112:113]
	;; [unrolled: 6-line block ×3, first 2 shown]
	v_add_f64 v[4:5], v[4:5], v[116:117]
	s_and_saveexec_b64 s[34:35], s[0:1]
	s_cbranch_execz .LBB0_13
; %bb.12:
	v_mul_f64 v[124:125], v[88:89], s[2:3]
	v_add_f64 v[114:115], v[114:115], v[124:125]
	v_mul_f64 v[124:125], v[80:81], s[6:7]
	v_mul_f64 v[122:123], v[10:11], s[10:11]
	v_add_f64 v[112:113], v[112:113], v[124:125]
	v_mul_f64 v[124:125], v[68:69], s[8:9]
	v_add_f64 v[110:111], v[110:111], v[124:125]
	;; [unrolled: 2-line block ×3, first 2 shown]
	v_add_f64 v[106:107], v[106:107], v[124:125]
	v_add_f64 v[104:105], v[14:15], v[104:105]
	v_mul_f64 v[116:117], v[10:11], s[6:7]
	v_mul_f64 v[120:121], v[10:11], s[8:9]
	v_add_f64 v[104:105], v[106:107], v[104:105]
	v_mul_f64 v[124:125], v[60:61], s[8:9]
	v_mul_f64 v[106:107], v[60:61], s[2:3]
	v_add_f64 v[104:105], v[110:111], v[104:105]
	v_add_f64 v[96:97], v[96:97], v[120:121]
	;; [unrolled: 1-line block ×3, first 2 shown]
	v_mul_f64 v[118:119], v[10:11], s[2:3]
	v_add_f64 v[104:105], v[112:113], v[104:105]
	v_add_f64 v[98:99], v[98:99], v[106:107]
	;; [unrolled: 1-line block ×5, first 2 shown]
	v_mul_f64 v[10:11], v[10:11], s[16:17]
	v_add_f64 v[104:105], v[114:115], v[104:105]
	v_mul_f64 v[114:115], v[88:89], s[6:7]
	v_mul_f64 v[120:121], v[88:89], s[16:17]
	v_add_f64 v[96:97], v[98:99], v[96:97]
	v_mul_f64 v[98:99], v[88:89], s[8:9]
	v_add_f64 v[12:13], v[62:63], v[12:13]
	v_mul_f64 v[62:63], v[88:89], s[10:11]
	v_fma_f64 v[88:89], s[28:29], v[8:9], v[10:11]
	v_fmac_f64_e32 v[10:11], s[30:31], v[8:9]
	v_add_f64 v[8:9], v[14:15], v[10:11]
	v_add_f64 v[10:11], v[18:19], v[14:15]
	v_add_f64 v[10:11], v[22:23], v[10:11]
	v_mul_f64 v[122:123], v[60:61], s[10:11]
	v_add_f64 v[108:109], v[108:109], v[114:115]
	v_mul_f64 v[114:115], v[80:81], s[10:11]
	v_add_f64 v[66:67], v[66:67], v[118:119]
	v_add_f64 v[10:11], v[26:27], v[10:11]
	v_mul_f64 v[110:111], v[68:69], s[10:11]
	v_mul_f64 v[112:113], v[68:69], s[6:7]
	v_add_f64 v[102:103], v[102:103], v[114:115]
	v_mul_f64 v[114:115], v[68:69], s[16:17]
	v_add_f64 v[74:75], v[74:75], v[122:123]
	v_add_f64 v[66:67], v[14:15], v[66:67]
	;; [unrolled: 1-line block ×4, first 2 shown]
	v_mul_f64 v[114:115], v[80:81], s[2:3]
	v_add_f64 v[84:85], v[84:85], v[112:113]
	v_add_f64 v[66:67], v[74:75], v[66:67]
	;; [unrolled: 1-line block ×3, first 2 shown]
	v_mul_f64 v[60:61], v[60:61], s[6:7]
	v_add_f64 v[10:11], v[30:31], v[10:11]
	v_add_f64 v[66:67], v[84:85], v[66:67]
	;; [unrolled: 1-line block ×4, first 2 shown]
	v_mul_f64 v[68:69], v[68:69], s[2:3]
	v_fma_f64 v[86:87], s[22:23], v[58:59], v[60:61]
	v_fmac_f64_e32 v[60:61], s[18:19], v[58:59]
	v_add_f64 v[10:11], v[38:39], v[10:11]
	v_add_f64 v[12:13], v[84:85], v[12:13]
	v_mul_f64 v[78:79], v[80:81], s[8:9]
	s_mov_b32 s37, 0x3fe82f19
	s_mov_b32 s36, s14
	v_fma_f64 v[84:85], s[26:27], v[64:65], v[68:69]
	v_add_f64 v[88:89], v[14:15], v[88:89]
	v_fmac_f64_e32 v[68:69], s[12:13], v[64:65]
	v_add_f64 v[8:9], v[60:61], v[8:9]
	v_add_f64 v[10:11], v[42:43], v[10:11]
	v_mul_f64 v[106:107], v[80:81], s[16:17]
	v_add_f64 v[74:75], v[92:93], v[120:121]
	v_fma_f64 v[80:81], s[36:37], v[76:77], v[78:79]
	v_add_f64 v[86:87], v[86:87], v[88:89]
	v_fmac_f64_e32 v[78:79], s[14:15], v[76:77]
	v_add_f64 v[8:9], v[68:69], v[8:9]
	v_add_f64 v[10:11], v[50:51], v[10:11]
	;; [unrolled: 1-line block ×5, first 2 shown]
	v_fma_f64 v[74:75], s[24:25], v[82:83], v[62:63]
	v_add_f64 v[84:85], v[84:85], v[86:87]
	v_fmac_f64_e32 v[62:63], s[20:21], v[82:83]
	v_add_f64 v[8:9], v[78:79], v[8:9]
	v_add_f64 v[10:11], v[46:47], v[10:11]
	s_movk_i32 s33, 0x58
	v_add_f64 v[96:97], v[102:103], v[96:97]
	v_add_f64 v[94:95], v[94:95], v[98:99]
	;; [unrolled: 1-line block ×6, first 2 shown]
	v_mad_u32_u24 v14, v70, s33, 0
	v_add_f64 v[96:97], v[108:109], v[96:97]
	v_add_f64 v[66:67], v[94:95], v[66:67]
	;; [unrolled: 1-line block ×3, first 2 shown]
	ds_write2_b64 v14, v[10:11], v[8:9] offset1:1
	ds_write2_b64 v14, v[12:13], v[66:67] offset0:2 offset1:3
	ds_write2_b64 v14, v[96:97], v[104:105] offset0:4 offset1:5
	;; [unrolled: 1-line block ×4, first 2 shown]
	ds_write_b64 v14, v[74:75] offset:80
.LBB0_13:
	s_or_b64 exec, exec, s[34:35]
	v_add_f64 v[112:113], v[18:19], -v[54:55]
	v_add_f64 v[106:107], v[56:57], v[20:21]
	v_mul_f64 v[100:101], v[112:113], s[18:19]
	v_add_f64 v[102:103], v[22:23], -v[46:47]
	v_fma_f64 v[8:9], s[6:7], v[106:107], v[100:101]
	v_mul_f64 v[104:105], v[112:113], s[12:13]
	v_add_f64 v[88:89], v[48:49], v[24:25]
	v_mul_f64 v[90:91], v[102:103], s[14:15]
	v_add_f64 v[8:9], v[16:17], v[8:9]
	v_fma_f64 v[10:11], s[2:3], v[106:107], v[104:105]
	v_mul_f64 v[108:109], v[112:113], s[14:15]
	v_fma_f64 v[18:19], s[8:9], v[88:89], v[90:91]
	v_mul_f64 v[94:95], v[102:103], s[24:25]
	v_add_f64 v[10:11], v[16:17], v[10:11]
	v_fma_f64 v[12:13], s[8:9], v[106:107], v[108:109]
	v_mul_f64 v[110:111], v[112:113], s[20:21]
	v_add_f64 v[8:9], v[18:19], v[8:9]
	;; [unrolled: 3-line block ×3, first 2 shown]
	v_fma_f64 v[14:15], s[10:11], v[106:107], v[110:111]
	v_add_f64 v[10:11], v[18:19], v[10:11]
	v_fma_f64 v[18:19], s[2:3], v[88:89], v[96:97]
	v_mul_f64 v[98:99], v[102:103], s[28:29]
	v_add_f64 v[92:93], v[26:27], -v[50:51]
	v_add_f64 v[14:15], v[16:17], v[14:15]
	v_add_f64 v[12:13], v[18:19], v[12:13]
	v_fma_f64 v[18:19], s[16:17], v[88:89], v[98:99]
	v_add_f64 v[76:77], v[52:53], v[28:29]
	v_mul_f64 v[78:79], v[92:93], s[24:25]
	v_add_f64 v[14:15], v[18:19], v[14:15]
	v_fma_f64 v[18:19], s[10:11], v[76:77], v[78:79]
	v_mul_f64 v[82:83], v[92:93], s[22:23]
	v_add_f64 v[8:9], v[18:19], v[8:9]
	v_fma_f64 v[18:19], s[6:7], v[76:77], v[82:83]
	;; [unrolled: 3-line block ×3, first 2 shown]
	v_mul_f64 v[86:87], v[92:93], s[14:15]
	v_add_f64 v[80:81], v[34:35], -v[42:43]
	v_add_f64 v[12:13], v[18:19], v[12:13]
	v_fma_f64 v[18:19], s[8:9], v[76:77], v[86:87]
	v_add_f64 v[46:47], v[44:45], v[36:37]
	v_mul_f64 v[42:43], v[80:81], s[26:27]
	v_add_f64 v[14:15], v[18:19], v[14:15]
	v_fma_f64 v[18:19], s[2:3], v[46:47], v[42:43]
	v_mul_f64 v[50:51], v[80:81], s[30:31]
	v_add_f64 v[8:9], v[18:19], v[8:9]
	v_fma_f64 v[18:19], s[16:17], v[46:47], v[50:51]
	;; [unrolled: 3-line block ×3, first 2 shown]
	v_mul_f64 v[74:75], v[80:81], s[22:23]
	v_add_f64 v[38:39], v[30:31], -v[38:39]
	v_lshl_add_u32 v71, v70, 3, 0
	v_add_f64 v[12:13], v[10:11], v[12:13]
	v_fma_f64 v[10:11], s[6:7], v[46:47], v[74:75]
	v_add_f64 v[34:35], v[40:41], v[32:33]
	v_mul_f64 v[30:31], v[38:39], s[28:29]
	v_add_u32_e32 v114, 0x400, v71
	v_add_u32_e32 v115, 0xc00, v71
	v_add_f64 v[116:117], v[10:11], v[14:15]
	v_fma_f64 v[10:11], s[16:17], v[34:35], v[30:31]
	v_mul_f64 v[26:27], v[38:39], s[14:15]
	s_waitcnt lgkmcnt(0)
	s_barrier
	ds_read2_b64 v[58:61], v71 offset1:110
	ds_read2_b64 v[66:69], v114 offset0:92 offset1:202
	ds_read2_b64 v[62:65], v115 offset0:56 offset1:166
	v_add_f64 v[10:11], v[10:11], v[8:9]
	v_fma_f64 v[8:9], s[8:9], v[34:35], v[26:27]
	v_mul_f64 v[22:23], v[38:39], s[22:23]
	v_add_f64 v[8:9], v[8:9], v[18:19]
	v_fma_f64 v[14:15], s[6:7], v[34:35], v[22:23]
	v_mul_f64 v[18:19], v[38:39], s[12:13]
	v_add_f64 v[14:15], v[14:15], v[12:13]
	v_fma_f64 v[12:13], s[2:3], v[34:35], v[18:19]
	v_add_f64 v[12:13], v[12:13], v[116:117]
	s_waitcnt lgkmcnt(0)
	s_barrier
	s_and_saveexec_b64 s[12:13], s[0:1]
	s_cbranch_execz .LBB0_15
; %bb.14:
	s_mov_b32 s0, 0xf8bb580b
	s_mov_b32 s1, 0xbfe14ced
	v_mul_f64 v[112:113], v[112:113], s[0:1]
	s_mov_b32 s0, 0x8764f0ba
	s_mov_b32 s1, 0x3feaeb8c
	v_add_f64 v[20:21], v[20:21], v[16:17]
	v_fma_f64 v[136:137], v[106:107], s[0:1], -v[112:113]
	v_fmac_f64_e32 v[112:113], s[0:1], v[106:107]
	s_mov_b32 s0, 0x8eee2c13
	v_add_f64 v[20:21], v[24:25], v[20:21]
	s_mov_b32 s1, 0xbfed1bb4
	v_mul_f64 v[116:117], v[106:107], s[6:7]
	v_mul_f64 v[118:119], v[106:107], s[2:3]
	;; [unrolled: 1-line block ×4, first 2 shown]
	v_add_f64 v[20:21], v[28:29], v[20:21]
	v_mul_f64 v[102:103], v[102:103], s[0:1]
	s_mov_b32 s0, 0xd9c712b6
	v_add_f64 v[20:21], v[36:37], v[20:21]
	v_mul_f64 v[36:37], v[88:89], s[2:3]
	v_add_f64 v[100:101], v[116:117], -v[100:101]
	v_add_f64 v[104:105], v[118:119], -v[104:105]
	;; [unrolled: 1-line block ×4, first 2 shown]
	s_mov_b32 s1, 0x3fda9628
	v_mul_f64 v[124:125], v[88:89], s[16:17]
	v_add_f64 v[136:137], v[16:17], v[136:137]
	v_add_f64 v[112:113], v[16:17], v[112:113]
	;; [unrolled: 1-line block ×6, first 2 shown]
	v_fma_f64 v[108:109], v[88:89], s[0:1], -v[102:103]
	v_fmac_f64_e32 v[102:103], s[0:1], v[88:89]
	v_add_f64 v[36:37], v[36:37], -v[96:97]
	s_mov_b32 s0, 0x43842ef
	v_add_f64 v[24:25], v[36:37], v[24:25]
	v_add_f64 v[36:37], v[124:125], -v[98:99]
	s_mov_b32 s1, 0xbfefac9e
	v_add_f64 v[20:21], v[32:33], v[20:21]
	v_add_f64 v[16:17], v[36:37], v[16:17]
	v_mul_f64 v[36:37], v[92:93], s[0:1]
	s_mov_b32 s0, 0x640f44db
	v_add_f64 v[20:21], v[40:41], v[20:21]
	v_mul_f64 v[40:41], v[76:77], s[16:17]
	s_mov_b32 s1, 0xbfc2375f
	v_mul_f64 v[128:129], v[76:77], s[8:9]
	v_fma_f64 v[92:93], v[76:77], s[0:1], -v[36:37]
	v_fmac_f64_e32 v[36:37], s[0:1], v[76:77]
	v_add_f64 v[40:41], v[40:41], -v[84:85]
	s_mov_b32 s0, 0xbb3a28a1
	v_add_f64 v[24:25], v[40:41], v[24:25]
	v_add_f64 v[40:41], v[128:129], -v[86:87]
	s_mov_b32 s1, 0xbfe82f19
	v_mul_f64 v[28:29], v[88:89], s[8:9]
	v_add_f64 v[16:17], v[40:41], v[16:17]
	v_mul_f64 v[40:41], v[80:81], s[0:1]
	s_mov_b32 s0, 0x7f775887
	v_mul_f64 v[122:123], v[88:89], s[10:11]
	v_mul_f64 v[32:33], v[76:77], s[10:11]
	v_add_f64 v[88:89], v[102:103], v[112:113]
	v_add_f64 v[28:29], v[28:29], -v[90:91]
	s_mov_b32 s1, 0xbfe4f49e
	v_mul_f64 v[126:127], v[76:77], s[6:7]
	v_add_f64 v[20:21], v[44:45], v[20:21]
	v_mul_f64 v[44:45], v[46:47], s[2:3]
	v_add_f64 v[28:29], v[28:29], v[100:101]
	v_add_f64 v[90:91], v[122:123], -v[94:95]
	v_add_f64 v[36:37], v[36:37], v[88:89]
	v_add_f64 v[32:33], v[32:33], -v[78:79]
	v_fma_f64 v[76:77], v[46:47], s[0:1], -v[40:41]
	v_fmac_f64_e32 v[40:41], s[0:1], v[46:47]
	v_mul_f64 v[130:131], v[46:47], s[16:17]
	v_add_f64 v[90:91], v[90:91], v[104:105]
	v_add_f64 v[28:29], v[32:33], v[28:29]
	v_add_f64 v[32:33], v[126:127], -v[82:83]
	v_add_f64 v[36:37], v[40:41], v[36:37]
	v_add_f64 v[40:41], v[44:45], -v[42:43]
	s_mov_b32 s0, 0xfd768dbf
	v_add_f64 v[20:21], v[52:53], v[20:21]
	v_mul_f64 v[52:53], v[46:47], s[10:11]
	v_add_f64 v[32:33], v[32:33], v[90:91]
	v_add_f64 v[28:29], v[40:41], v[28:29]
	v_add_f64 v[40:41], v[130:131], -v[50:51]
	s_mov_b32 s1, 0xbfd207e7
	v_mul_f64 v[132:133], v[46:47], s[6:7]
	v_add_f64 v[108:109], v[108:109], v[136:137]
	v_add_f64 v[32:33], v[40:41], v[32:33]
	v_add_f64 v[40:41], v[52:53], -v[54:55]
	v_mul_f64 v[38:39], v[38:39], s[0:1]
	s_mov_b32 s0, 0x9bcd5057
	v_add_f64 v[20:21], v[48:49], v[20:21]
	v_mul_f64 v[106:107], v[34:35], s[2:3]
	v_add_f64 v[92:93], v[92:93], v[108:109]
	v_add_f64 v[24:25], v[40:41], v[24:25]
	v_add_f64 v[40:41], v[132:133], -v[74:75]
	s_mov_b32 s1, 0xbfeeb42a
	v_mul_f64 v[48:49], v[34:35], s[16:17]
	v_mul_f64 v[134:135], v[34:35], s[8:9]
	v_add_f64 v[20:21], v[56:57], v[20:21]
	v_mul_f64 v[56:57], v[34:35], s[6:7]
	v_add_f64 v[76:77], v[76:77], v[92:93]
	v_add_f64 v[16:17], v[40:41], v[16:17]
	v_fma_f64 v[40:41], v[34:35], s[0:1], -v[38:39]
	v_fmac_f64_e32 v[38:39], s[0:1], v[34:35]
	v_add_f64 v[18:19], v[106:107], -v[18:19]
	s_movk_i32 s0, 0x50
	v_add_f64 v[40:41], v[40:41], v[76:77]
	v_add_f64 v[30:31], v[48:49], -v[30:31]
	v_add_f64 v[26:27], v[134:135], -v[26:27]
	v_add_f64 v[22:23], v[56:57], -v[22:23]
	v_add_f64 v[16:17], v[18:19], v[16:17]
	v_mad_u32_u24 v18, v70, s0, v71
	v_add_f64 v[34:35], v[38:39], v[36:37]
	v_add_f64 v[28:29], v[30:31], v[28:29]
	;; [unrolled: 1-line block ×4, first 2 shown]
	ds_write2_b64 v18, v[20:21], v[40:41] offset1:1
	ds_write2_b64 v18, v[28:29], v[26:27] offset0:2 offset1:3
	ds_write2_b64 v18, v[22:23], v[16:17] offset0:4 offset1:5
	;; [unrolled: 1-line block ×4, first 2 shown]
	ds_write_b64 v18, v[34:35] offset:80
.LBB0_15:
	s_or_b64 exec, exec, s[12:13]
	s_movk_i32 s0, 0x75
	v_mul_lo_u16_sdwa v16, v70, s0 dst_sel:DWORD dst_unused:UNUSED_PAD src0_sel:BYTE_0 src1_sel:DWORD
	v_sub_u16_sdwa v17, v70, v16 dst_sel:DWORD dst_unused:UNUSED_PAD src0_sel:DWORD src1_sel:BYTE_1
	v_lshrrev_b16_e32 v17, 1, v17
	v_and_b32_e32 v17, 0x7f, v17
	v_add_u16_sdwa v16, v17, v16 dst_sel:DWORD dst_unused:UNUSED_PAD src0_sel:DWORD src1_sel:BYTE_1
	v_lshrrev_b16_e32 v20, 3, v16
	v_mul_lo_u16_e32 v16, 11, v20
	v_sub_u16_e32 v21, v70, v16
	v_mov_b32_e32 v16, 5
	v_mul_u32_u24_sdwa v16, v21, v16 dst_sel:DWORD dst_unused:UNUSED_PAD src0_sel:BYTE_0 src1_sel:DWORD
	v_lshlrev_b32_e32 v22, 4, v16
	s_waitcnt lgkmcnt(0)
	s_barrier
	global_load_dwordx4 v[16:19], v22, s[4:5]
	global_load_dwordx4 v[24:27], v22, s[4:5] offset:16
	global_load_dwordx4 v[28:31], v22, s[4:5] offset:32
	global_load_dwordx4 v[44:47], v22, s[4:5] offset:48
	global_load_dwordx4 v[48:51], v22, s[4:5] offset:64
	ds_read2_b64 v[38:41], v71 offset1:110
	ds_read2_b64 v[54:57], v114 offset0:92 offset1:202
	ds_read2_b64 v[74:77], v115 offset0:56 offset1:166
	v_mov_b32_e32 v22, 3
	v_mul_u32_u24_e32 v20, 0x210, v20
	v_lshlrev_b32_sdwa v21, v22, v21 dst_sel:DWORD dst_unused:UNUSED_PAD src0_sel:DWORD src1_sel:BYTE_0
	s_mov_b32 s6, 0xe8584caa
	v_add3_u32 v52, 0, v20, v21
	s_mov_b32 s7, 0xbfebb67a
	s_mov_b32 s3, 0x3febb67a
	;; [unrolled: 1-line block ×3, first 2 shown]
	s_movk_i32 s0, 0x42
	v_cmp_gt_u32_e64 s[0:1], s0, v70
	s_waitcnt lgkmcnt(0)
	s_barrier
	s_waitcnt vmcnt(4)
	v_mul_f64 v[32:33], v[40:41], v[18:19]
	v_mul_f64 v[18:19], v[60:61], v[18:19]
	s_waitcnt vmcnt(2)
	v_mul_f64 v[78:79], v[56:57], v[30:31]
	v_mul_f64 v[30:31], v[68:69], v[30:31]
	;; [unrolled: 3-line block ×3, first 2 shown]
	v_mul_f64 v[22:23], v[74:75], v[46:47]
	v_mul_f64 v[46:47], v[62:63], v[46:47]
	v_fma_f64 v[34:35], v[40:41], v[16:17], -v[18:19]
	v_fma_f64 v[36:37], v[56:57], v[28:29], -v[30:31]
	;; [unrolled: 1-line block ×3, first 2 shown]
	v_mul_f64 v[20:21], v[54:55], v[26:27]
	v_mul_f64 v[26:27], v[66:67], v[26:27]
	v_fmac_f64_e32 v[78:79], v[68:69], v[28:29]
	v_fmac_f64_e32 v[22:23], v[62:63], v[44:45]
	v_fma_f64 v[44:45], v[74:75], v[44:45], -v[46:47]
	v_fmac_f64_e32 v[80:81], v[64:65], v[48:49]
	v_add_f64 v[46:47], v[36:37], v[40:41]
	v_fmac_f64_e32 v[32:33], v[60:61], v[16:17]
	v_fmac_f64_e32 v[20:21], v[66:67], v[24:25]
	v_fma_f64 v[42:43], v[54:55], v[24:25], -v[26:27]
	v_add_f64 v[28:29], v[78:79], v[80:81]
	v_add_f64 v[54:55], v[78:79], -v[80:81]
	v_fma_f64 v[46:47], -0.5, v[46:47], v[34:35]
	v_add_f64 v[18:19], v[20:21], v[22:23]
	v_add_f64 v[26:27], v[32:33], v[78:79]
	v_add_f64 v[30:31], v[36:37], -v[40:41]
	v_fmac_f64_e32 v[32:33], -0.5, v[28:29]
	v_fma_f64 v[50:51], s[2:3], v[54:55], v[46:47]
	v_fmac_f64_e32 v[46:47], s[6:7], v[54:55]
	v_add_f64 v[16:17], v[58:59], v[20:21]
	v_add_f64 v[24:25], v[42:43], -v[44:45]
	v_fmac_f64_e32 v[58:59], -0.5, v[18:19]
	v_fma_f64 v[48:49], s[6:7], v[30:31], v[32:33]
	v_fmac_f64_e32 v[32:33], s[2:3], v[30:31]
	v_mul_f64 v[30:31], v[50:51], s[6:7]
	v_mul_f64 v[54:55], v[46:47], s[6:7]
	v_add_f64 v[56:57], v[16:17], v[22:23]
	v_add_f64 v[18:19], v[26:27], v[80:81]
	v_fma_f64 v[28:29], s[6:7], v[24:25], v[58:59]
	v_fmac_f64_e32 v[58:59], s[2:3], v[24:25]
	v_fmac_f64_e32 v[30:31], 0.5, v[48:49]
	v_fmac_f64_e32 v[54:55], -0.5, v[32:33]
	v_add_f64 v[16:17], v[56:57], v[18:19]
	v_add_f64 v[26:27], v[56:57], -v[18:19]
	v_add_f64 v[18:19], v[28:29], v[30:31]
	v_add_f64 v[24:25], v[58:59], v[54:55]
	v_add_f64 v[28:29], v[28:29], -v[30:31]
	v_add_f64 v[30:31], v[58:59], -v[54:55]
	ds_write2_b64 v52, v[16:17], v[18:19] offset1:11
	ds_write2_b64 v52, v[24:25], v[26:27] offset0:22 offset1:33
	ds_write2_b64 v52, v[28:29], v[30:31] offset0:44 offset1:55
	s_waitcnt lgkmcnt(0)
	s_barrier
	s_and_saveexec_b64 s[8:9], s[0:1]
	s_cbranch_execz .LBB0_17
; %bb.16:
	v_add_u32_e32 v0, 0x800, v71
	ds_read2_b64 v[16:19], v71 offset1:66
	ds_read2_b64 v[24:27], v71 offset0:132 offset1:198
	ds_read2_b64 v[28:31], v0 offset0:8 offset1:74
	;; [unrolled: 1-line block ×3, first 2 shown]
	v_add_u32_e32 v0, 0x1000, v71
	ds_read2_b64 v[0:3], v0 offset0:16 offset1:82
.LBB0_17:
	s_or_b64 exec, exec, s[8:9]
	v_add_f64 v[54:55], v[38:39], v[42:43]
	v_add_f64 v[42:43], v[42:43], v[44:45]
	v_fmac_f64_e32 v[38:39], -0.5, v[42:43]
	v_add_f64 v[20:21], v[20:21], -v[22:23]
	v_fma_f64 v[42:43], s[2:3], v[20:21], v[38:39]
	v_fmac_f64_e32 v[38:39], s[6:7], v[20:21]
	v_add_f64 v[20:21], v[34:35], v[36:37]
	v_add_f64 v[34:35], v[20:21], v[40:41]
	v_mul_f64 v[36:37], v[50:51], 0.5
	v_mul_f64 v[40:41], v[46:47], -0.5
	v_add_f64 v[54:55], v[54:55], v[44:45]
	v_fmac_f64_e32 v[36:37], s[2:3], v[48:49]
	v_fmac_f64_e32 v[40:41], s[2:3], v[32:33]
	v_add_f64 v[20:21], v[54:55], v[34:35]
	v_add_f64 v[22:23], v[42:43], v[36:37]
	;; [unrolled: 1-line block ×3, first 2 shown]
	v_add_f64 v[34:35], v[54:55], -v[34:35]
	v_add_f64 v[36:37], v[42:43], -v[36:37]
	;; [unrolled: 1-line block ×3, first 2 shown]
	s_waitcnt lgkmcnt(0)
	s_barrier
	ds_write2_b64 v52, v[20:21], v[22:23] offset1:11
	ds_write2_b64 v52, v[32:33], v[34:35] offset0:22 offset1:33
	ds_write2_b64 v52, v[36:37], v[38:39] offset0:44 offset1:55
	s_waitcnt lgkmcnt(0)
	s_barrier
	s_and_saveexec_b64 s[2:3], s[0:1]
	s_cbranch_execnz .LBB0_20
; %bb.18:
	s_or_b64 exec, exec, s[2:3]
	s_and_b64 s[0:1], vcc, s[0:1]
	s_and_saveexec_b64 s[2:3], s[0:1]
	s_cbranch_execnz .LBB0_21
.LBB0_19:
	s_endpgm
.LBB0_20:
	v_add_u32_e32 v8, 0x800, v71
	ds_read2_b64 v[20:23], v71 offset1:66
	ds_read2_b64 v[32:35], v71 offset0:132 offset1:198
	ds_read2_b64 v[36:39], v8 offset0:8 offset1:74
	;; [unrolled: 1-line block ×3, first 2 shown]
	v_add_u32_e32 v8, 0x1000, v71
	ds_read2_b64 v[8:11], v8 offset0:16 offset1:82
	s_or_b64 exec, exec, s[2:3]
	s_and_b64 s[0:1], vcc, s[0:1]
	s_and_saveexec_b64 s[2:3], s[0:1]
	s_cbranch_execz .LBB0_19
.LBB0_21:
	v_mul_u32_u24_e32 v40, 9, v70
	v_lshlrev_b32_e32 v68, 4, v40
	global_load_dwordx4 v[40:43], v68, s[4:5] offset:896
	global_load_dwordx4 v[44:47], v68, s[4:5] offset:928
	;; [unrolled: 1-line block ×9, first 2 shown]
	s_mov_b32 s4, 0x134454ff
	s_mov_b32 s5, 0xbfee6f0e
	s_mov_b32 s0, 0x4755a5e
	s_mov_b32 s1, 0xbfe2cf23
	s_mov_b32 s2, 0x372fe950
	s_mov_b32 s7, 0x3fee6f0e
	s_mov_b32 s6, s4
	s_mov_b32 s3, 0x3fd3c6ef
	s_mov_b32 s9, 0x3fe2cf23
	s_mov_b32 s10, 0x9b97f4a8
	s_mov_b32 s8, s0
	s_mov_b32 s11, 0xbfe9e377
	s_mov_b32 s13, 0xbfd3c6ef
	s_mov_b32 s12, s2
	s_mov_b32 s15, 0x3fe9e377
	s_mov_b32 s14, s10
	v_mov_b32_e32 v71, 0
	s_waitcnt vmcnt(8)
	v_mul_f64 v[68:69], v[24:25], v[42:43]
	s_waitcnt vmcnt(7)
	v_mul_f64 v[82:83], v[28:29], v[46:47]
	;; [unrolled: 2-line block ×4, first 2 shown]
	s_waitcnt lgkmcnt(3)
	v_mul_f64 v[42:43], v[32:33], v[42:43]
	s_waitcnt lgkmcnt(0)
	v_mul_f64 v[50:51], v[8:9], v[50:51]
	v_mul_f64 v[46:47], v[36:37], v[46:47]
	;; [unrolled: 1-line block ×3, first 2 shown]
	s_waitcnt vmcnt(2)
	v_mul_f64 v[92:93], v[10:11], v[66:67]
	s_waitcnt vmcnt(1)
	v_mul_f64 v[94:95], v[14:15], v[76:77]
	v_mul_f64 v[66:67], v[2:3], v[66:67]
	v_fma_f64 v[32:33], v[32:33], v[40:41], -v[68:69]
	v_fma_f64 v[36:37], v[36:37], v[44:45], -v[82:83]
	;; [unrolled: 1-line block ×4, first 2 shown]
	v_mul_f64 v[90:91], v[38:39], v[62:63]
	v_mul_f64 v[62:63], v[30:31], v[62:63]
	;; [unrolled: 1-line block ×3, first 2 shown]
	v_fmac_f64_e32 v[42:43], v[24:25], v[40:41]
	v_fmac_f64_e32 v[92:93], v[2:3], v[64:65]
	;; [unrolled: 1-line block ×3, first 2 shown]
	v_fma_f64 v[24:25], v[10:11], v[64:65], -v[66:67]
	v_add_f64 v[2:3], v[32:33], -v[36:37]
	v_add_f64 v[6:7], v[8:9], -v[12:13]
	v_add_f64 v[10:11], v[36:37], v[12:13]
	v_mul_f64 v[88:89], v[34:35], v[58:59]
	v_fmac_f64_e32 v[50:51], v[0:1], v[48:49]
	v_fmac_f64_e32 v[90:91], v[30:31], v[60:61]
	v_fma_f64 v[0:1], v[38:39], v[60:61], -v[62:63]
	v_add_f64 v[60:61], v[2:3], v[6:7]
	v_fma_f64 v[62:63], -0.5, v[10:11], v[20:21]
	v_add_f64 v[6:7], v[36:37], -v[32:33]
	v_add_f64 v[10:11], v[12:13], -v[8:9]
	v_fmac_f64_e32 v[88:89], v[26:27], v[56:57]
	v_add_f64 v[10:11], v[6:7], v[10:11]
	v_add_f64 v[6:7], v[32:33], v[8:9]
	s_waitcnt vmcnt(0)
	v_mul_f64 v[96:97], v[22:23], v[80:81]
	v_mul_f64 v[58:59], v[26:27], v[58:59]
	v_fmac_f64_e32 v[54:55], v[4:5], v[52:53]
	v_fma_f64 v[4:5], v[14:15], v[74:75], -v[76:77]
	v_fma_f64 v[68:69], -0.5, v[6:7], v[20:21]
	v_add_f64 v[6:7], v[90:91], -v[88:89]
	v_add_f64 v[76:77], v[94:95], -v[92:93]
	v_mul_f64 v[80:81], v[18:19], v[80:81]
	v_fmac_f64_e32 v[96:97], v[18:19], v[78:79]
	v_fma_f64 v[18:19], v[34:35], v[56:57], -v[58:59]
	v_add_f64 v[76:77], v[6:7], v[76:77]
	v_add_f64 v[6:7], v[88:89], v[92:93]
	v_fma_f64 v[22:23], v[22:23], v[78:79], -v[80:81]
	v_fma_f64 v[78:79], -0.5, v[6:7], v[96:97]
	v_add_f64 v[6:7], v[0:1], -v[18:19]
	v_add_f64 v[82:83], v[4:5], -v[24:25]
	v_fmac_f64_e32 v[46:47], v[28:29], v[44:45]
	v_add_f64 v[28:29], v[88:89], -v[90:91]
	v_add_f64 v[30:31], v[92:93], -v[94:95]
	v_add_f64 v[38:39], v[90:91], v[94:95]
	v_add_f64 v[40:41], v[18:19], -v[24:25]
	v_add_f64 v[44:45], v[18:19], -v[0:1]
	;; [unrolled: 1-line block ×3, first 2 shown]
	v_add_f64 v[52:53], v[0:1], v[4:5]
	v_add_f64 v[82:83], v[6:7], v[82:83]
	;; [unrolled: 1-line block ×4, first 2 shown]
	v_add_f64 v[34:35], v[0:1], -v[4:5]
	v_add_f64 v[56:57], v[88:89], -v[92:93]
	v_add_f64 v[28:29], v[28:29], v[30:31]
	v_fma_f64 v[30:31], -0.5, v[38:39], v[96:97]
	v_add_f64 v[38:39], v[44:45], v[48:49]
	v_fma_f64 v[44:45], -0.5, v[52:53], v[22:23]
	v_add_f64 v[20:21], v[20:21], v[32:33]
	v_add_f64 v[0:1], v[0:1], v[18:19]
	v_add_f64 v[14:15], v[42:43], -v[50:51]
	v_add_f64 v[58:59], v[90:91], -v[94:95]
	v_fma_f64 v[64:65], s[4:5], v[56:57], v[44:45]
	v_add_f64 v[20:21], v[20:21], v[36:37]
	v_add_f64 v[0:1], v[4:5], v[0:1]
	v_add_f64 v[26:27], v[46:47], -v[54:55]
	v_fma_f64 v[48:49], s[4:5], v[14:15], v[62:63]
	v_fma_f64 v[52:53], s[6:7], v[40:41], v[30:31]
	v_fmac_f64_e32 v[64:65], s[0:1], v[58:59]
	v_fmac_f64_e32 v[62:63], s[6:7], v[14:15]
	v_add_f64 v[20:21], v[20:21], v[12:13]
	v_add_f64 v[24:25], v[24:25], v[0:1]
	v_add_f64 v[0:1], v[42:43], -v[46:47]
	v_add_f64 v[4:5], v[50:51], -v[54:55]
	v_fmac_f64_e32 v[48:49], s[0:1], v[26:27]
	v_fmac_f64_e32 v[52:53], s[8:9], v[34:35]
	;; [unrolled: 1-line block ×3, first 2 shown]
	v_fma_f64 v[74:75], s[6:7], v[26:27], v[68:69]
	v_fma_f64 v[80:81], s[4:5], v[34:35], v[78:79]
	v_fma_f64 v[84:85], -0.5, v[6:7], v[22:23]
	v_fmac_f64_e32 v[68:69], s[4:5], v[26:27]
	v_fmac_f64_e32 v[78:79], s[6:7], v[34:35]
	v_fmac_f64_e32 v[62:63], s[8:9], v[26:27]
	v_add_f64 v[20:21], v[8:9], v[20:21]
	v_add_f64 v[22:23], v[0:1], v[4:5]
	v_add_f64 v[26:27], v[32:33], -v[8:9]
	v_add_f64 v[4:5], v[46:47], -v[42:43]
	v_add_f64 v[8:9], v[54:55], -v[50:51]
	v_fmac_f64_e32 v[52:53], s[2:3], v[28:29]
	v_mul_f64 v[66:67], v[64:65], s[10:11]
	v_fmac_f64_e32 v[80:81], s[8:9], v[40:41]
	v_fmac_f64_e32 v[78:79], s[0:1], v[40:41]
	;; [unrolled: 1-line block ×3, first 2 shown]
	v_add_f64 v[0:1], v[46:47], v[54:55]
	v_mul_f64 v[40:41], v[64:65], s[0:1]
	v_add_f64 v[8:9], v[4:5], v[8:9]
	v_add_f64 v[4:5], v[42:43], v[50:51]
	v_fmac_f64_e32 v[66:67], s[8:9], v[52:53]
	v_fma_f64 v[32:33], -0.5, v[0:1], v[16:17]
	v_fmac_f64_e32 v[40:41], s[10:11], v[52:53]
	v_fma_f64 v[52:53], -0.5, v[4:5], v[16:17]
	v_add_f64 v[16:17], v[16:17], v[42:43]
	v_add_f64 v[16:17], v[16:17], v[46:47]
	v_fma_f64 v[86:87], s[6:7], v[58:59], v[84:85]
	v_add_f64 v[16:17], v[16:17], v[54:55]
	v_fmac_f64_e32 v[86:87], s[0:1], v[56:57]
	v_fmac_f64_e32 v[84:85], s[4:5], v[58:59]
	;; [unrolled: 1-line block ×3, first 2 shown]
	v_add_f64 v[12:13], v[36:37], -v[12:13]
	v_add_f64 v[42:43], v[50:51], v[16:17]
	v_add_f64 v[16:17], v[88:89], v[96:97]
	v_fmac_f64_e32 v[86:87], s[2:3], v[82:83]
	v_fmac_f64_e32 v[84:85], s[8:9], v[56:57]
	;; [unrolled: 1-line block ×3, first 2 shown]
	v_fma_f64 v[36:37], s[6:7], v[26:27], v[32:33]
	v_fma_f64 v[56:57], s[4:5], v[12:13], v[52:53]
	v_add_f64 v[16:17], v[90:91], v[16:17]
	v_fmac_f64_e32 v[80:81], s[2:3], v[76:77]
	v_fmac_f64_e32 v[84:85], s[2:3], v[82:83]
	;; [unrolled: 1-line block ×6, first 2 shown]
	v_mul_f64 v[58:59], v[86:87], s[4:5]
	v_fmac_f64_e32 v[52:53], s[6:7], v[12:13]
	v_fmac_f64_e32 v[32:33], s[4:5], v[26:27]
	v_add_f64 v[16:17], v[94:95], v[16:17]
	v_fmac_f64_e32 v[48:49], s[2:3], v[60:61]
	v_fmac_f64_e32 v[74:75], s[0:1], v[14:15]
	v_mul_f64 v[98:99], v[86:87], s[12:13]
	v_fmac_f64_e32 v[68:69], s[8:9], v[14:15]
	v_fmac_f64_e32 v[78:79], s[2:3], v[76:77]
	v_mul_f64 v[76:77], v[84:85], s[2:3]
	;; [unrolled: 3-line block ×3, first 2 shown]
	v_fmac_f64_e32 v[36:37], s[2:3], v[22:23]
	v_fmac_f64_e32 v[56:57], s[2:3], v[8:9]
	;; [unrolled: 1-line block ×4, first 2 shown]
	v_mul_f64 v[60:61], v[84:85], s[4:5]
	v_fmac_f64_e32 v[32:33], s[0:1], v[12:13]
	v_mul_f64 v[44:45], v[44:45], s[0:1]
	v_add_f64 v[46:47], v[92:93], v[16:17]
	v_fmac_f64_e32 v[74:75], s[2:3], v[10:11]
	v_fmac_f64_e32 v[98:99], s[6:7], v[80:81]
	v_fmac_f64_e32 v[68:69], s[2:3], v[10:11]
	v_fmac_f64_e32 v[76:77], s[6:7], v[78:79]
	v_fmac_f64_e32 v[28:29], s[8:9], v[30:31]
	v_add_f64 v[18:19], v[20:21], -v[24:25]
	v_add_f64 v[0:1], v[36:37], -v[40:41]
	v_fmac_f64_e32 v[52:53], s[2:3], v[8:9]
	v_fmac_f64_e32 v[60:61], s[2:3], v[78:79]
	;; [unrolled: 1-line block ×4, first 2 shown]
	v_add_f64 v[38:39], v[20:21], v[24:25]
	v_add_f64 v[20:21], v[36:37], v[40:41]
	;; [unrolled: 1-line block ×4, first 2 shown]
	v_lshl_add_u64 v[40:41], v[70:71], 4, v[72:73]
	s_movk_i32 s0, 0x1000
	v_add_f64 v[14:15], v[62:63], -v[28:29]
	v_add_f64 v[12:13], v[32:33], -v[44:45]
	v_add_f64 v[26:27], v[74:75], v[98:99]
	v_add_f64 v[30:31], v[68:69], v[76:77]
	;; [unrolled: 1-line block ×5, first 2 shown]
	global_store_dwordx4 v[40:41], v[36:39], off
	global_store_dwordx4 v[40:41], v[32:35], off offset:1056
	global_store_dwordx4 v[40:41], v[28:31], off offset:2112
	;; [unrolled: 1-line block ×3, first 2 shown]
	v_add_f64 v[8:9], v[52:53], -v[60:61]
	v_add_f64 v[22:23], v[48:49], v[66:67]
	v_add_co_u32_e32 v24, vcc, s0, v40
	v_add_f64 v[10:11], v[68:69], -v[76:77]
	s_nop 0
	v_addc_co_u32_e32 v25, vcc, 0, v41, vcc
	v_add_f64 v[16:17], v[42:43], -v[46:47]
	global_store_dwordx4 v[24:25], v[20:23], off offset:128
	global_store_dwordx4 v[24:25], v[16:19], off offset:1184
	;; [unrolled: 1-line block ×4, first 2 shown]
	v_add_f64 v[6:7], v[74:75], -v[98:99]
	v_add_f64 v[4:5], v[56:57], -v[58:59]
	v_add_co_u32_e32 v8, vcc, 0x2000, v40
	v_add_f64 v[2:3], v[48:49], -v[66:67]
	s_nop 0
	v_addc_co_u32_e32 v9, vcc, 0, v41, vcc
	global_store_dwordx4 v[8:9], v[4:7], off offset:256
	global_store_dwordx4 v[8:9], v[0:3], off offset:1312
	s_endpgm
	.section	.rodata,"a",@progbits
	.p2align	6, 0x0
	.amdhsa_kernel fft_rtc_back_len660_factors_11_6_10_wgs_110_tpt_110_halfLds_dp_ip_CI_unitstride_sbrr_dirReg
		.amdhsa_group_segment_fixed_size 0
		.amdhsa_private_segment_fixed_size 0
		.amdhsa_kernarg_size 88
		.amdhsa_user_sgpr_count 2
		.amdhsa_user_sgpr_dispatch_ptr 0
		.amdhsa_user_sgpr_queue_ptr 0
		.amdhsa_user_sgpr_kernarg_segment_ptr 1
		.amdhsa_user_sgpr_dispatch_id 0
		.amdhsa_user_sgpr_kernarg_preload_length 0
		.amdhsa_user_sgpr_kernarg_preload_offset 0
		.amdhsa_user_sgpr_private_segment_size 0
		.amdhsa_uses_dynamic_stack 0
		.amdhsa_enable_private_segment 0
		.amdhsa_system_sgpr_workgroup_id_x 1
		.amdhsa_system_sgpr_workgroup_id_y 0
		.amdhsa_system_sgpr_workgroup_id_z 0
		.amdhsa_system_sgpr_workgroup_info 0
		.amdhsa_system_vgpr_workitem_id 0
		.amdhsa_next_free_vgpr 138
		.amdhsa_next_free_sgpr 38
		.amdhsa_accum_offset 140
		.amdhsa_reserve_vcc 1
		.amdhsa_float_round_mode_32 0
		.amdhsa_float_round_mode_16_64 0
		.amdhsa_float_denorm_mode_32 3
		.amdhsa_float_denorm_mode_16_64 3
		.amdhsa_dx10_clamp 1
		.amdhsa_ieee_mode 1
		.amdhsa_fp16_overflow 0
		.amdhsa_tg_split 0
		.amdhsa_exception_fp_ieee_invalid_op 0
		.amdhsa_exception_fp_denorm_src 0
		.amdhsa_exception_fp_ieee_div_zero 0
		.amdhsa_exception_fp_ieee_overflow 0
		.amdhsa_exception_fp_ieee_underflow 0
		.amdhsa_exception_fp_ieee_inexact 0
		.amdhsa_exception_int_div_zero 0
	.end_amdhsa_kernel
	.text
.Lfunc_end0:
	.size	fft_rtc_back_len660_factors_11_6_10_wgs_110_tpt_110_halfLds_dp_ip_CI_unitstride_sbrr_dirReg, .Lfunc_end0-fft_rtc_back_len660_factors_11_6_10_wgs_110_tpt_110_halfLds_dp_ip_CI_unitstride_sbrr_dirReg
                                        ; -- End function
	.section	.AMDGPU.csdata,"",@progbits
; Kernel info:
; codeLenInByte = 7100
; NumSgprs: 44
; NumVgprs: 138
; NumAgprs: 0
; TotalNumVgprs: 138
; ScratchSize: 0
; MemoryBound: 1
; FloatMode: 240
; IeeeMode: 1
; LDSByteSize: 0 bytes/workgroup (compile time only)
; SGPRBlocks: 5
; VGPRBlocks: 17
; NumSGPRsForWavesPerEU: 44
; NumVGPRsForWavesPerEU: 138
; AccumOffset: 140
; Occupancy: 3
; WaveLimiterHint : 1
; COMPUTE_PGM_RSRC2:SCRATCH_EN: 0
; COMPUTE_PGM_RSRC2:USER_SGPR: 2
; COMPUTE_PGM_RSRC2:TRAP_HANDLER: 0
; COMPUTE_PGM_RSRC2:TGID_X_EN: 1
; COMPUTE_PGM_RSRC2:TGID_Y_EN: 0
; COMPUTE_PGM_RSRC2:TGID_Z_EN: 0
; COMPUTE_PGM_RSRC2:TIDIG_COMP_CNT: 0
; COMPUTE_PGM_RSRC3_GFX90A:ACCUM_OFFSET: 34
; COMPUTE_PGM_RSRC3_GFX90A:TG_SPLIT: 0
	.text
	.p2alignl 6, 3212836864
	.fill 256, 4, 3212836864
	.type	__hip_cuid_96ded50cc1312373,@object ; @__hip_cuid_96ded50cc1312373
	.section	.bss,"aw",@nobits
	.globl	__hip_cuid_96ded50cc1312373
__hip_cuid_96ded50cc1312373:
	.byte	0                               ; 0x0
	.size	__hip_cuid_96ded50cc1312373, 1

	.ident	"AMD clang version 19.0.0git (https://github.com/RadeonOpenCompute/llvm-project roc-6.4.0 25133 c7fe45cf4b819c5991fe208aaa96edf142730f1d)"
	.section	".note.GNU-stack","",@progbits
	.addrsig
	.addrsig_sym __hip_cuid_96ded50cc1312373
	.amdgpu_metadata
---
amdhsa.kernels:
  - .agpr_count:     0
    .args:
      - .actual_access:  read_only
        .address_space:  global
        .offset:         0
        .size:           8
        .value_kind:     global_buffer
      - .offset:         8
        .size:           8
        .value_kind:     by_value
      - .actual_access:  read_only
        .address_space:  global
        .offset:         16
        .size:           8
        .value_kind:     global_buffer
      - .actual_access:  read_only
        .address_space:  global
        .offset:         24
        .size:           8
        .value_kind:     global_buffer
      - .offset:         32
        .size:           8
        .value_kind:     by_value
      - .actual_access:  read_only
        .address_space:  global
        .offset:         40
        .size:           8
        .value_kind:     global_buffer
      - .actual_access:  read_only
        .address_space:  global
        .offset:         48
        .size:           8
        .value_kind:     global_buffer
      - .offset:         56
        .size:           4
        .value_kind:     by_value
      - .actual_access:  read_only
        .address_space:  global
        .offset:         64
        .size:           8
        .value_kind:     global_buffer
      - .actual_access:  read_only
        .address_space:  global
        .offset:         72
        .size:           8
        .value_kind:     global_buffer
      - .address_space:  global
        .offset:         80
        .size:           8
        .value_kind:     global_buffer
    .group_segment_fixed_size: 0
    .kernarg_segment_align: 8
    .kernarg_segment_size: 88
    .language:       OpenCL C
    .language_version:
      - 2
      - 0
    .max_flat_workgroup_size: 110
    .name:           fft_rtc_back_len660_factors_11_6_10_wgs_110_tpt_110_halfLds_dp_ip_CI_unitstride_sbrr_dirReg
    .private_segment_fixed_size: 0
    .sgpr_count:     44
    .sgpr_spill_count: 0
    .symbol:         fft_rtc_back_len660_factors_11_6_10_wgs_110_tpt_110_halfLds_dp_ip_CI_unitstride_sbrr_dirReg.kd
    .uniform_work_group_size: 1
    .uses_dynamic_stack: false
    .vgpr_count:     138
    .vgpr_spill_count: 0
    .wavefront_size: 64
amdhsa.target:   amdgcn-amd-amdhsa--gfx950
amdhsa.version:
  - 1
  - 2
...

	.end_amdgpu_metadata
